;; amdgpu-corpus repo=pytorch/pytorch kind=compiled arch=gfx1250 opt=O3
	.amdgcn_target "amdgcn-amd-amdhsa--gfx1250"
	.amdhsa_code_object_version 6
	.section	.text._ZN2at6native12_GLOBAL__N_143linalg_eig_make_complex_eigenvectors_kernelIdEEvPN3c107complexIT_EEPKS6_PKS5_lll,"axG",@progbits,_ZN2at6native12_GLOBAL__N_143linalg_eig_make_complex_eigenvectors_kernelIdEEvPN3c107complexIT_EEPKS6_PKS5_lll,comdat
	.globl	_ZN2at6native12_GLOBAL__N_143linalg_eig_make_complex_eigenvectors_kernelIdEEvPN3c107complexIT_EEPKS6_PKS5_lll ; -- Begin function _ZN2at6native12_GLOBAL__N_143linalg_eig_make_complex_eigenvectors_kernelIdEEvPN3c107complexIT_EEPKS6_PKS5_lll
	.p2align	8
	.type	_ZN2at6native12_GLOBAL__N_143linalg_eig_make_complex_eigenvectors_kernelIdEEvPN3c107complexIT_EEPKS6_PKS5_lll,@function
_ZN2at6native12_GLOBAL__N_143linalg_eig_make_complex_eigenvectors_kernelIdEEvPN3c107complexIT_EEPKS6_PKS5_lll: ; @_ZN2at6native12_GLOBAL__N_143linalg_eig_make_complex_eigenvectors_kernelIdEEvPN3c107complexIT_EEPKS6_PKS5_lll
; %bb.0:
	s_clause 0x1
	s_load_b32 s2, s[0:1], 0x3c
	s_load_b128 s[4:7], s[0:1], 0x18
	s_bfe_u32 s3, ttmp6, 0x4000c
	s_and_b32 s8, ttmp6, 15
	s_add_co_i32 s3, s3, 1
	s_getreg_b32 s9, hwreg(HW_REG_IB_STS2, 6, 4)
	s_mul_i32 s3, ttmp9, s3
	v_mov_b32_e32 v3, 0
	s_add_co_i32 s8, s8, s3
	s_wait_kmcnt 0x0
	s_and_b32 s2, s2, 0xffff
	s_cmp_eq_u32 s9, 0
	s_cselect_b32 s3, ttmp9, s8
	s_delay_alu instid0(SALU_CYCLE_1) | instskip(SKIP_1) | instid1(SALU_CYCLE_1)
	v_mad_u32 v2, s3, s2, v0
	s_mul_u64 s[2:3], s[6:7], s[6:7]
	s_mul_u64 s[4:5], s[2:3], s[4:5]
	s_delay_alu instid0(VALU_DEP_1) | instid1(SALU_CYCLE_1)
	v_cmp_gt_i64_e32 vcc_lo, s[4:5], v[2:3]
	s_and_saveexec_b32 s4, vcc_lo
	s_cbranch_execz .LBB0_16
; %bb.1:
	s_load_b64 s[4:5], s[0:1], 0x28
	v_mov_b64_e32 v[0:1], 0
	s_mov_b32 s8, exec_lo
	v_cmpx_le_u64_e64 s[2:3], v[2:3]
	s_cbranch_execz .LBB0_3
; %bb.2:
	v_cvt_f32_u32_e32 v0, s2
	s_sub_co_i32 s9, 0, s2
	s_delay_alu instid0(VALU_DEP_1) | instskip(SKIP_1) | instid1(TRANS32_DEP_1)
	v_rcp_iflag_f32_e32 v0, v0
	v_nop
	v_mul_f32_e32 v0, 0x4f7ffffe, v0
	s_delay_alu instid0(VALU_DEP_1) | instskip(NEXT) | instid1(VALU_DEP_1)
	v_cvt_u32_f32_e32 v0, v0
	v_mul_lo_u32 v1, s9, v0
	s_delay_alu instid0(VALU_DEP_1) | instskip(NEXT) | instid1(VALU_DEP_1)
	v_mul_hi_u32 v1, v0, v1
	v_add_nc_u32_e32 v0, v0, v1
	s_delay_alu instid0(VALU_DEP_1) | instskip(NEXT) | instid1(VALU_DEP_1)
	v_mul_hi_u32 v0, v2, v0
	v_mul_lo_u32 v1, v0, s2
	s_delay_alu instid0(VALU_DEP_1) | instskip(NEXT) | instid1(VALU_DEP_1)
	v_sub_nc_u32_e32 v1, v2, v1
	v_subrev_nc_u32_e32 v5, s2, v1
	v_cmp_le_u32_e32 vcc_lo, s2, v1
	s_delay_alu instid0(VALU_DEP_2) | instskip(NEXT) | instid1(VALU_DEP_1)
	v_dual_cndmask_b32 v1, v1, v5 :: v_dual_add_nc_u32 v4, 1, v0
	v_cndmask_b32_e32 v0, v0, v4, vcc_lo
	s_delay_alu instid0(VALU_DEP_2) | instskip(NEXT) | instid1(VALU_DEP_2)
	v_cmp_le_u32_e32 vcc_lo, s2, v1
	v_dual_mov_b32 v1, 0 :: v_dual_add_nc_u32 v4, 1, v0
	s_delay_alu instid0(VALU_DEP_1)
	v_cndmask_b32_e32 v0, v0, v4, vcc_lo
.LBB0_3:
	s_or_b32 exec_lo, exec_lo, s8
	s_delay_alu instid0(VALU_DEP_1) | instskip(SKIP_1) | instid1(VALU_DEP_1)
	v_mul_u64_e32 v[4:5], s[2:3], v[0:1]
                                        ; implicit-def: $vgpr10_vgpr11
	s_mov_b32 s2, exec_lo
	v_sub_nc_u64_e32 v[4:5], v[2:3], v[4:5]
	s_delay_alu instid0(VALU_DEP_1) | instskip(NEXT) | instid1(VALU_DEP_1)
	v_dual_mov_b32 v2, 0 :: v_dual_bitop2_b32 v3, s7, v5 bitop3:0x54
	v_cmpx_ne_u64_e32 0, v[2:3]
	s_xor_b32 s3, exec_lo, s2
	s_cbranch_execz .LBB0_5
; %bb.4:
	s_ashr_i32 s8, s7, 31
	s_mov_b32 s19, 0
	s_mov_b32 s9, s8
	v_dual_mov_b32 v11, v2 :: v_dual_ashrrev_i32 v6, 31, v5
	s_add_nc_u64 s[10:11], s[6:7], s[8:9]
	v_dual_mov_b32 v19, v2 :: v_dual_mov_b32 v3, v2
	s_xor_b64 s[10:11], s[10:11], s[8:9]
	s_delay_alu instid0(VALU_DEP_2) | instskip(SKIP_3) | instid1(VALU_DEP_1)
	v_mov_b32_e32 v7, v6
	s_cvt_f32_u32 s2, s10
	s_cvt_f32_u32 s9, s11
	s_sub_nc_u64 s[14:15], 0, s[10:11]
	v_add_nc_u64_e32 v[8:9], v[4:5], v[6:7]
	s_delay_alu instid0(SALU_CYCLE_1) | instskip(SKIP_1) | instid1(SALU_CYCLE_2)
	s_fmamk_f32 s2, s9, 0x4f800000, s2
	v_mov_b32_e32 v13, v2
	v_s_rcp_f32 s2, s2
	s_delay_alu instid0(VALU_DEP_2) | instskip(NEXT) | instid1(VALU_DEP_3)
	v_xor_b32_e32 v10, v8, v6
	v_xor_b32_e32 v12, v9, v6
	;; [unrolled: 1-line block ×3, first 2 shown]
	s_delay_alu instid0(TRANS32_DEP_1) | instskip(NEXT) | instid1(SALU_CYCLE_3)
	s_mul_f32 s2, s2, 0x5f7ffffc
	s_mul_f32 s9, s2, 0x2f800000
	s_delay_alu instid0(SALU_CYCLE_3) | instskip(NEXT) | instid1(SALU_CYCLE_3)
	s_trunc_f32 s9, s9
	s_fmamk_f32 s2, s9, 0xcf800000, s2
	s_cvt_u32_f32 s13, s9
	s_delay_alu instid0(SALU_CYCLE_2) | instskip(NEXT) | instid1(SALU_CYCLE_3)
	s_cvt_u32_f32 s12, s2
	s_mul_u64 s[16:17], s[14:15], s[12:13]
	s_delay_alu instid0(SALU_CYCLE_1)
	s_mul_hi_u32 s21, s12, s17
	s_mul_i32 s20, s12, s17
	s_mul_hi_u32 s18, s12, s16
	s_mul_i32 s9, s13, s16
	s_add_nc_u64 s[20:21], s[18:19], s[20:21]
	s_mul_hi_u32 s2, s13, s16
	s_mul_hi_u32 s22, s13, s17
	s_add_co_u32 s9, s20, s9
	s_add_co_ci_u32 s18, s21, s2
	s_mul_i32 s16, s13, s17
	s_add_co_ci_u32 s17, s22, 0
	s_delay_alu instid0(SALU_CYCLE_1) | instskip(NEXT) | instid1(SALU_CYCLE_1)
	s_add_nc_u64 s[16:17], s[18:19], s[16:17]
	s_add_co_u32 s12, s12, s16
	s_cselect_b32 s2, -1, 0
	s_delay_alu instid0(SALU_CYCLE_1) | instskip(SKIP_1) | instid1(SALU_CYCLE_1)
	s_cmp_lg_u32 s2, 0
	s_add_co_ci_u32 s13, s13, s17
	s_mul_u64 s[14:15], s[14:15], s[12:13]
	s_delay_alu instid0(SALU_CYCLE_1)
	s_mul_hi_u32 s17, s12, s15
	s_mul_i32 s16, s12, s15
	s_mul_hi_u32 s18, s12, s14
	s_mul_i32 s9, s13, s14
	s_add_nc_u64 s[16:17], s[18:19], s[16:17]
	s_mul_hi_u32 s2, s13, s14
	s_mul_hi_u32 s20, s13, s15
	s_add_co_u32 s9, s16, s9
	s_add_co_ci_u32 s18, s17, s2
	s_mul_i32 s14, s13, s15
	s_add_co_ci_u32 s15, s20, 0
	s_delay_alu instid0(SALU_CYCLE_1) | instskip(NEXT) | instid1(SALU_CYCLE_1)
	s_add_nc_u64 s[14:15], s[18:19], s[14:15]
	s_add_co_u32 s2, s12, s14
	s_cselect_b32 s9, -1, 0
	v_mul_hi_u32 v18, v10, s2
	s_cmp_lg_u32 s9, 0
	s_add_co_ci_u32 s18, s13, s15
	s_mov_b64 s[12:13], 0xffffffff
	v_mul_u64_e32 v[14:15], s[18:19], v[10:11]
	s_and_b64 s[12:13], s[2:3], s[12:13]
	v_mul_u64_e32 v[16:17], s[18:19], v[12:13]
	v_mul_u64_e32 v[8:9], s[12:13], v[12:13]
	s_delay_alu instid0(VALU_DEP_3) | instskip(NEXT) | instid1(VALU_DEP_1)
	v_add_nc_u64_e32 v[14:15], v[18:19], v[14:15]
	v_add_co_u32 v2, vcc_lo, v14, v8
	s_delay_alu instid0(VALU_DEP_2) | instskip(SKIP_1) | instid1(VALU_DEP_1)
	v_add_co_ci_u32_e32 v2, vcc_lo, v15, v9, vcc_lo
	v_add_co_ci_u32_e32 v17, vcc_lo, 0, v17, vcc_lo
	v_add_nc_u64_e32 v[2:3], v[2:3], v[16:17]
	s_delay_alu instid0(VALU_DEP_1) | instskip(NEXT) | instid1(VALU_DEP_1)
	v_mul_u64_e32 v[8:9], s[10:11], v[2:3]
	v_sub_nc_u32_e32 v7, v12, v9
	s_delay_alu instid0(VALU_DEP_2) | instskip(NEXT) | instid1(VALU_DEP_1)
	v_sub_co_u32 v8, vcc_lo, v10, v8
	v_sub_co_ci_u32_e64 v12, null, v12, v9, vcc_lo
	s_delay_alu instid0(VALU_DEP_3) | instskip(NEXT) | instid1(VALU_DEP_3)
	v_subrev_co_ci_u32_e64 v7, null, s11, v7, vcc_lo
	v_sub_co_u32 v10, s2, v8, s10
	s_delay_alu instid0(VALU_DEP_1) | instskip(NEXT) | instid1(VALU_DEP_2)
	v_subrev_co_ci_u32_e64 v7, null, 0, v7, s2
	v_cmp_le_u32_e32 vcc_lo, s10, v10
	v_cndmask_b32_e64 v9, 0, -1, vcc_lo
	s_delay_alu instid0(VALU_DEP_3)
	v_cmp_le_u32_e32 vcc_lo, s11, v7
	v_cndmask_b32_e64 v10, 0, -1, vcc_lo
	v_cmp_le_u32_e32 vcc_lo, s10, v8
	v_cndmask_b32_e64 v13, 0, -1, vcc_lo
	v_cmp_le_u32_e32 vcc_lo, s11, v12
	v_cndmask_b32_e64 v14, 0, -1, vcc_lo
	v_cmp_eq_u32_e32 vcc_lo, s11, v7
	v_cndmask_b32_e32 v7, v10, v9, vcc_lo
	v_cmp_eq_u32_e32 vcc_lo, s11, v12
	v_add_nc_u64_e32 v[8:9], 2, v[2:3]
	v_add_nc_u64_e32 v[10:11], 1, v[2:3]
	v_cndmask_b32_e32 v12, v14, v13, vcc_lo
	v_cmp_ne_u32_e32 vcc_lo, 0, v7
	s_delay_alu instid0(VALU_DEP_2) | instskip(NEXT) | instid1(VALU_DEP_4)
	v_cmp_ne_u32_e64 s2, 0, v12
	v_dual_cndmask_b32 v8, v10, v8 :: v_dual_cndmask_b32 v7, v11, v9
	s_delay_alu instid0(VALU_DEP_1) | instskip(SKIP_1) | instid1(VALU_DEP_2)
	v_dual_cndmask_b32 v2, v2, v8, s2 :: v_dual_cndmask_b32 v3, v3, v7, s2
	v_mov_b32_e32 v7, v6
	v_xor_b32_e32 v2, v2, v6
	s_delay_alu instid0(VALU_DEP_3) | instskip(NEXT) | instid1(VALU_DEP_1)
	v_xor_b32_e32 v3, v3, v6
	v_sub_nc_u64_e32 v[10:11], v[2:3], v[6:7]
.LBB0_5:
	s_or_saveexec_b32 s2, s3
	s_load_b128 s[8:11], s[0:1], 0x8
	s_xor_b32 exec_lo, exec_lo, s2
	s_cbranch_execz .LBB0_7
; %bb.6:
	v_cvt_f32_u32_e32 v2, s6
	s_sub_co_i32 s3, 0, s6
	v_mov_b32_e32 v11, 0
	s_delay_alu instid0(VALU_DEP_2) | instskip(SKIP_1) | instid1(TRANS32_DEP_1)
	v_rcp_iflag_f32_e32 v2, v2
	v_nop
	v_mul_f32_e32 v2, 0x4f7ffffe, v2
	s_delay_alu instid0(VALU_DEP_1) | instskip(NEXT) | instid1(VALU_DEP_1)
	v_cvt_u32_f32_e32 v2, v2
	v_mul_lo_u32 v3, s3, v2
	s_delay_alu instid0(VALU_DEP_1) | instskip(NEXT) | instid1(VALU_DEP_1)
	v_mul_hi_u32 v3, v2, v3
	v_add_nc_u32_e32 v2, v2, v3
	s_delay_alu instid0(VALU_DEP_1) | instskip(NEXT) | instid1(VALU_DEP_1)
	v_mul_hi_u32 v2, v4, v2
	v_mul_lo_u32 v3, v2, s6
	s_delay_alu instid0(VALU_DEP_1) | instskip(NEXT) | instid1(VALU_DEP_1)
	v_sub_nc_u32_e32 v3, v4, v3
	v_subrev_nc_u32_e32 v7, s6, v3
	v_cmp_le_u32_e32 vcc_lo, s6, v3
	s_delay_alu instid0(VALU_DEP_2) | instskip(NEXT) | instid1(VALU_DEP_1)
	v_dual_cndmask_b32 v3, v3, v7 :: v_dual_add_nc_u32 v6, 1, v2
	v_cndmask_b32_e32 v2, v2, v6, vcc_lo
	s_delay_alu instid0(VALU_DEP_2) | instskip(NEXT) | instid1(VALU_DEP_2)
	v_cmp_le_u32_e32 vcc_lo, s6, v3
	v_add_nc_u32_e32 v6, 1, v2
	s_delay_alu instid0(VALU_DEP_1)
	v_cndmask_b32_e32 v10, v2, v6, vcc_lo
.LBB0_7:
	s_or_b32 exec_lo, exec_lo, s2
	v_mul_u64_e32 v[2:3], s[6:7], v[0:1]
	s_wait_kmcnt 0x0
	v_mul_u64_e32 v[6:7], s[4:5], v[0:1]
	s_mov_b32 s2, exec_lo
                                        ; implicit-def: $vgpr0_vgpr1
	s_delay_alu instid0(VALU_DEP_2) | instskip(NEXT) | instid1(VALU_DEP_2)
	v_lshl_add_u64 v[2:3], v[2:3], 4, s[8:9]
	v_lshl_add_u64 v[8:9], v[6:7], 3, s[10:11]
	s_delay_alu instid0(VALU_DEP_2)
	v_lshl_add_u64 v[2:3], v[10:11], 4, v[2:3]
	global_load_b64 v[12:13], v[2:3], off offset:8
                                        ; implicit-def: $vgpr2_vgpr3
	s_wait_loadcnt 0x0
	v_cmpx_neq_f64_e32 0, v[12:13]
	s_xor_b32 s2, exec_lo, s2
	s_cbranch_execz .LBB0_13
; %bb.8:
	v_mul_u64_e32 v[10:11], s[6:7], v[10:11]
	v_cmp_nlt_f64_e32 vcc_lo, 0, v[12:13]
                                        ; implicit-def: $vgpr2_vgpr3
                                        ; implicit-def: $vgpr0_vgpr1
	s_delay_alu instid0(VALU_DEP_2) | instskip(SKIP_1) | instid1(SALU_CYCLE_1)
	v_sub_nc_u64_e32 v[12:13], v[4:5], v[10:11]
	s_and_saveexec_b32 s3, vcc_lo
	s_xor_b32 s3, exec_lo, s3
	s_cbranch_execz .LBB0_10
; %bb.9:
	v_lshl_add_u64 v[0:1], v[4:5], 3, v[8:9]
	global_load_b64 v[2:3], v[0:1], off
	s_wait_xcnt 0x0
	v_sub_nc_u64_e64 v[0:1], v[10:11], s[6:7]
                                        ; implicit-def: $vgpr10_vgpr11
	s_delay_alu instid0(VALU_DEP_1) | instskip(NEXT) | instid1(VALU_DEP_1)
	v_lshl_add_u64 v[0:1], v[0:1], 3, v[8:9]
                                        ; implicit-def: $vgpr8_vgpr9
	v_lshl_add_u64 v[0:1], v[12:13], 3, v[0:1]
                                        ; implicit-def: $vgpr12_vgpr13
	s_wait_loadcnt 0x0
	v_xor_b32_e32 v3, 0x80000000, v3
.LBB0_10:
	s_and_not1_saveexec_b32 s3, s3
	s_cbranch_execz .LBB0_12
; %bb.11:
	v_add_nc_u64_e32 v[0:1], s[6:7], v[10:11]
	s_delay_alu instid0(VALU_DEP_1) | instskip(NEXT) | instid1(VALU_DEP_1)
	v_lshl_add_u64 v[0:1], v[0:1], 3, v[8:9]
	v_lshl_add_u64 v[0:1], v[12:13], 3, v[0:1]
	global_load_b64 v[2:3], v[0:1], off
	s_wait_xcnt 0x0
	v_lshl_add_u64 v[0:1], v[4:5], 3, v[8:9]
.LBB0_12:
	s_or_b32 exec_lo, exec_lo, s3
                                        ; implicit-def: $vgpr8_vgpr9
.LBB0_13:
	s_or_saveexec_b32 s2, s2
	s_load_b64 s[0:1], s[0:1], 0x0
	s_xor_b32 exec_lo, exec_lo, s2
	s_cbranch_execz .LBB0_15
; %bb.14:
	s_wait_loadcnt 0x0
	v_mov_b64_e32 v[2:3], 0
	v_lshl_add_u64 v[0:1], v[4:5], 3, v[8:9]
.LBB0_15:
	s_or_b32 exec_lo, exec_lo, s2
	global_load_b64 v[0:1], v[0:1], off
	s_wait_kmcnt 0x0
	v_lshl_add_u64 v[6:7], v[6:7], 4, s[0:1]
	s_delay_alu instid0(VALU_DEP_1)
	v_lshl_add_u64 v[4:5], v[4:5], 4, v[6:7]
	s_wait_loadcnt 0x0
	global_store_b128 v[4:5], v[0:3], off
.LBB0_16:
	s_endpgm
	.section	.rodata,"a",@progbits
	.p2align	6, 0x0
	.amdhsa_kernel _ZN2at6native12_GLOBAL__N_143linalg_eig_make_complex_eigenvectors_kernelIdEEvPN3c107complexIT_EEPKS6_PKS5_lll
		.amdhsa_group_segment_fixed_size 0
		.amdhsa_private_segment_fixed_size 0
		.amdhsa_kernarg_size 304
		.amdhsa_user_sgpr_count 2
		.amdhsa_user_sgpr_dispatch_ptr 0
		.amdhsa_user_sgpr_queue_ptr 0
		.amdhsa_user_sgpr_kernarg_segment_ptr 1
		.amdhsa_user_sgpr_dispatch_id 0
		.amdhsa_user_sgpr_kernarg_preload_length 0
		.amdhsa_user_sgpr_kernarg_preload_offset 0
		.amdhsa_user_sgpr_private_segment_size 0
		.amdhsa_wavefront_size32 1
		.amdhsa_uses_dynamic_stack 0
		.amdhsa_enable_private_segment 0
		.amdhsa_system_sgpr_workgroup_id_x 1
		.amdhsa_system_sgpr_workgroup_id_y 0
		.amdhsa_system_sgpr_workgroup_id_z 0
		.amdhsa_system_sgpr_workgroup_info 0
		.amdhsa_system_vgpr_workitem_id 0
		.amdhsa_next_free_vgpr 20
		.amdhsa_next_free_sgpr 23
		.amdhsa_named_barrier_count 0
		.amdhsa_reserve_vcc 1
		.amdhsa_float_round_mode_32 0
		.amdhsa_float_round_mode_16_64 0
		.amdhsa_float_denorm_mode_32 3
		.amdhsa_float_denorm_mode_16_64 3
		.amdhsa_fp16_overflow 0
		.amdhsa_memory_ordered 1
		.amdhsa_forward_progress 1
		.amdhsa_inst_pref_size 11
		.amdhsa_round_robin_scheduling 0
		.amdhsa_exception_fp_ieee_invalid_op 0
		.amdhsa_exception_fp_denorm_src 0
		.amdhsa_exception_fp_ieee_div_zero 0
		.amdhsa_exception_fp_ieee_overflow 0
		.amdhsa_exception_fp_ieee_underflow 0
		.amdhsa_exception_fp_ieee_inexact 0
		.amdhsa_exception_int_div_zero 0
	.end_amdhsa_kernel
	.section	.text._ZN2at6native12_GLOBAL__N_143linalg_eig_make_complex_eigenvectors_kernelIdEEvPN3c107complexIT_EEPKS6_PKS5_lll,"axG",@progbits,_ZN2at6native12_GLOBAL__N_143linalg_eig_make_complex_eigenvectors_kernelIdEEvPN3c107complexIT_EEPKS6_PKS5_lll,comdat
.Lfunc_end0:
	.size	_ZN2at6native12_GLOBAL__N_143linalg_eig_make_complex_eigenvectors_kernelIdEEvPN3c107complexIT_EEPKS6_PKS5_lll, .Lfunc_end0-_ZN2at6native12_GLOBAL__N_143linalg_eig_make_complex_eigenvectors_kernelIdEEvPN3c107complexIT_EEPKS6_PKS5_lll
                                        ; -- End function
	.set _ZN2at6native12_GLOBAL__N_143linalg_eig_make_complex_eigenvectors_kernelIdEEvPN3c107complexIT_EEPKS6_PKS5_lll.num_vgpr, 20
	.set _ZN2at6native12_GLOBAL__N_143linalg_eig_make_complex_eigenvectors_kernelIdEEvPN3c107complexIT_EEPKS6_PKS5_lll.num_agpr, 0
	.set _ZN2at6native12_GLOBAL__N_143linalg_eig_make_complex_eigenvectors_kernelIdEEvPN3c107complexIT_EEPKS6_PKS5_lll.numbered_sgpr, 23
	.set _ZN2at6native12_GLOBAL__N_143linalg_eig_make_complex_eigenvectors_kernelIdEEvPN3c107complexIT_EEPKS6_PKS5_lll.num_named_barrier, 0
	.set _ZN2at6native12_GLOBAL__N_143linalg_eig_make_complex_eigenvectors_kernelIdEEvPN3c107complexIT_EEPKS6_PKS5_lll.private_seg_size, 0
	.set _ZN2at6native12_GLOBAL__N_143linalg_eig_make_complex_eigenvectors_kernelIdEEvPN3c107complexIT_EEPKS6_PKS5_lll.uses_vcc, 1
	.set _ZN2at6native12_GLOBAL__N_143linalg_eig_make_complex_eigenvectors_kernelIdEEvPN3c107complexIT_EEPKS6_PKS5_lll.uses_flat_scratch, 0
	.set _ZN2at6native12_GLOBAL__N_143linalg_eig_make_complex_eigenvectors_kernelIdEEvPN3c107complexIT_EEPKS6_PKS5_lll.has_dyn_sized_stack, 0
	.set _ZN2at6native12_GLOBAL__N_143linalg_eig_make_complex_eigenvectors_kernelIdEEvPN3c107complexIT_EEPKS6_PKS5_lll.has_recursion, 0
	.set _ZN2at6native12_GLOBAL__N_143linalg_eig_make_complex_eigenvectors_kernelIdEEvPN3c107complexIT_EEPKS6_PKS5_lll.has_indirect_call, 0
	.section	.AMDGPU.csdata,"",@progbits
; Kernel info:
; codeLenInByte = 1376
; TotalNumSgprs: 25
; NumVgprs: 20
; ScratchSize: 0
; MemoryBound: 0
; FloatMode: 240
; IeeeMode: 1
; LDSByteSize: 0 bytes/workgroup (compile time only)
; SGPRBlocks: 0
; VGPRBlocks: 1
; NumSGPRsForWavesPerEU: 25
; NumVGPRsForWavesPerEU: 20
; NamedBarCnt: 0
; Occupancy: 16
; WaveLimiterHint : 0
; COMPUTE_PGM_RSRC2:SCRATCH_EN: 0
; COMPUTE_PGM_RSRC2:USER_SGPR: 2
; COMPUTE_PGM_RSRC2:TRAP_HANDLER: 0
; COMPUTE_PGM_RSRC2:TGID_X_EN: 1
; COMPUTE_PGM_RSRC2:TGID_Y_EN: 0
; COMPUTE_PGM_RSRC2:TGID_Z_EN: 0
; COMPUTE_PGM_RSRC2:TIDIG_COMP_CNT: 0
	.section	.text._ZN2at6native12_GLOBAL__N_143linalg_eig_make_complex_eigenvectors_kernelIfEEvPN3c107complexIT_EEPKS6_PKS5_lll,"axG",@progbits,_ZN2at6native12_GLOBAL__N_143linalg_eig_make_complex_eigenvectors_kernelIfEEvPN3c107complexIT_EEPKS6_PKS5_lll,comdat
	.globl	_ZN2at6native12_GLOBAL__N_143linalg_eig_make_complex_eigenvectors_kernelIfEEvPN3c107complexIT_EEPKS6_PKS5_lll ; -- Begin function _ZN2at6native12_GLOBAL__N_143linalg_eig_make_complex_eigenvectors_kernelIfEEvPN3c107complexIT_EEPKS6_PKS5_lll
	.p2align	8
	.type	_ZN2at6native12_GLOBAL__N_143linalg_eig_make_complex_eigenvectors_kernelIfEEvPN3c107complexIT_EEPKS6_PKS5_lll,@function
_ZN2at6native12_GLOBAL__N_143linalg_eig_make_complex_eigenvectors_kernelIfEEvPN3c107complexIT_EEPKS6_PKS5_lll: ; @_ZN2at6native12_GLOBAL__N_143linalg_eig_make_complex_eigenvectors_kernelIfEEvPN3c107complexIT_EEPKS6_PKS5_lll
; %bb.0:
	s_clause 0x1
	s_load_b32 s2, s[0:1], 0x3c
	s_load_b128 s[4:7], s[0:1], 0x18
	s_bfe_u32 s3, ttmp6, 0x4000c
	s_and_b32 s8, ttmp6, 15
	s_add_co_i32 s3, s3, 1
	s_getreg_b32 s9, hwreg(HW_REG_IB_STS2, 6, 4)
	s_mul_i32 s3, ttmp9, s3
	v_mov_b32_e32 v1, 0
	s_add_co_i32 s8, s8, s3
	s_wait_kmcnt 0x0
	s_and_b32 s2, s2, 0xffff
	s_cmp_eq_u32 s9, 0
	s_cselect_b32 s3, ttmp9, s8
	s_delay_alu instid0(SALU_CYCLE_1) | instskip(SKIP_1) | instid1(SALU_CYCLE_1)
	v_mad_u32 v0, s3, s2, v0
	s_mul_u64 s[2:3], s[6:7], s[6:7]
	s_mul_u64 s[4:5], s[2:3], s[4:5]
	s_delay_alu instid0(VALU_DEP_1) | instid1(SALU_CYCLE_1)
	v_cmp_gt_i64_e32 vcc_lo, s[4:5], v[0:1]
	s_and_saveexec_b32 s4, vcc_lo
	s_cbranch_execz .LBB1_15
; %bb.1:
	s_load_b64 s[4:5], s[0:1], 0x28
	v_mov_b64_e32 v[2:3], 0
	s_mov_b32 s8, exec_lo
	v_cmpx_le_u64_e64 s[2:3], v[0:1]
	s_cbranch_execz .LBB1_3
; %bb.2:
	v_cvt_f32_u32_e32 v2, s2
	s_sub_co_i32 s9, 0, s2
	s_delay_alu instid0(VALU_DEP_1) | instskip(SKIP_1) | instid1(TRANS32_DEP_1)
	v_rcp_iflag_f32_e32 v2, v2
	v_nop
	v_mul_f32_e32 v2, 0x4f7ffffe, v2
	s_delay_alu instid0(VALU_DEP_1) | instskip(NEXT) | instid1(VALU_DEP_1)
	v_cvt_u32_f32_e32 v2, v2
	v_mul_lo_u32 v3, s9, v2
	s_delay_alu instid0(VALU_DEP_1) | instskip(NEXT) | instid1(VALU_DEP_1)
	v_mul_hi_u32 v3, v2, v3
	v_add_nc_u32_e32 v2, v2, v3
	s_delay_alu instid0(VALU_DEP_1) | instskip(NEXT) | instid1(VALU_DEP_1)
	v_mul_hi_u32 v2, v0, v2
	v_mul_lo_u32 v3, v2, s2
	s_delay_alu instid0(VALU_DEP_1) | instskip(NEXT) | instid1(VALU_DEP_1)
	v_dual_add_nc_u32 v4, 1, v2 :: v_dual_sub_nc_u32 v3, v0, v3
	v_subrev_nc_u32_e32 v5, s2, v3
	v_cmp_le_u32_e32 vcc_lo, s2, v3
	s_delay_alu instid0(VALU_DEP_2) | instskip(NEXT) | instid1(VALU_DEP_1)
	v_dual_cndmask_b32 v3, v3, v5 :: v_dual_cndmask_b32 v2, v2, v4
	v_cmp_le_u32_e32 vcc_lo, s2, v3
	s_delay_alu instid0(VALU_DEP_2) | instskip(NEXT) | instid1(VALU_DEP_1)
	v_dual_mov_b32 v3, 0 :: v_dual_add_nc_u32 v4, 1, v2
	v_cndmask_b32_e32 v2, v2, v4, vcc_lo
.LBB1_3:
	s_or_b32 exec_lo, exec_lo, s8
	s_delay_alu instid0(VALU_DEP_1) | instskip(SKIP_1) | instid1(VALU_DEP_1)
	v_mul_u64_e32 v[4:5], s[2:3], v[2:3]
                                        ; implicit-def: $vgpr6_vgpr7
	s_mov_b32 s2, exec_lo
	v_sub_nc_u64_e32 v[0:1], v[0:1], v[4:5]
	s_delay_alu instid0(VALU_DEP_1) | instskip(NEXT) | instid1(VALU_DEP_1)
	v_dual_mov_b32 v4, 0 :: v_dual_bitop2_b32 v5, s7, v1 bitop3:0x54
	v_cmpx_ne_u64_e32 0, v[4:5]
	s_xor_b32 s3, exec_lo, s2
	s_cbranch_execz .LBB1_5
; %bb.4:
	s_ashr_i32 s8, s7, 31
	s_mov_b32 s19, 0
	s_mov_b32 s9, s8
	v_dual_mov_b32 v11, v4 :: v_dual_ashrrev_i32 v6, 31, v1
	s_add_nc_u64 s[10:11], s[6:7], s[8:9]
	v_dual_mov_b32 v19, v4 :: v_dual_mov_b32 v5, v4
	s_xor_b64 s[10:11], s[10:11], s[8:9]
	s_delay_alu instid0(VALU_DEP_2) | instskip(SKIP_3) | instid1(VALU_DEP_1)
	v_mov_b32_e32 v7, v6
	s_cvt_f32_u32 s2, s10
	s_cvt_f32_u32 s9, s11
	s_sub_nc_u64 s[14:15], 0, s[10:11]
	v_add_nc_u64_e32 v[8:9], v[0:1], v[6:7]
	s_delay_alu instid0(SALU_CYCLE_1) | instskip(SKIP_1) | instid1(SALU_CYCLE_2)
	s_fmamk_f32 s2, s9, 0x4f800000, s2
	v_mov_b32_e32 v13, v4
	v_s_rcp_f32 s2, s2
	s_delay_alu instid0(VALU_DEP_2) | instskip(NEXT) | instid1(VALU_DEP_3)
	v_xor_b32_e32 v10, v8, v6
	v_xor_b32_e32 v12, v9, v6
	;; [unrolled: 1-line block ×3, first 2 shown]
	s_delay_alu instid0(TRANS32_DEP_1) | instskip(NEXT) | instid1(SALU_CYCLE_3)
	s_mul_f32 s2, s2, 0x5f7ffffc
	s_mul_f32 s9, s2, 0x2f800000
	s_delay_alu instid0(SALU_CYCLE_3) | instskip(NEXT) | instid1(SALU_CYCLE_3)
	s_trunc_f32 s9, s9
	s_fmamk_f32 s2, s9, 0xcf800000, s2
	s_cvt_u32_f32 s13, s9
	s_delay_alu instid0(SALU_CYCLE_2) | instskip(NEXT) | instid1(SALU_CYCLE_3)
	s_cvt_u32_f32 s12, s2
	s_mul_u64 s[16:17], s[14:15], s[12:13]
	s_delay_alu instid0(SALU_CYCLE_1)
	s_mul_hi_u32 s21, s12, s17
	s_mul_i32 s20, s12, s17
	s_mul_hi_u32 s18, s12, s16
	s_mul_i32 s9, s13, s16
	s_add_nc_u64 s[20:21], s[18:19], s[20:21]
	s_mul_hi_u32 s2, s13, s16
	s_mul_hi_u32 s22, s13, s17
	s_add_co_u32 s9, s20, s9
	s_add_co_ci_u32 s18, s21, s2
	s_mul_i32 s16, s13, s17
	s_add_co_ci_u32 s17, s22, 0
	s_delay_alu instid0(SALU_CYCLE_1) | instskip(NEXT) | instid1(SALU_CYCLE_1)
	s_add_nc_u64 s[16:17], s[18:19], s[16:17]
	s_add_co_u32 s12, s12, s16
	s_cselect_b32 s2, -1, 0
	s_delay_alu instid0(SALU_CYCLE_1) | instskip(SKIP_1) | instid1(SALU_CYCLE_1)
	s_cmp_lg_u32 s2, 0
	s_add_co_ci_u32 s13, s13, s17
	s_mul_u64 s[14:15], s[14:15], s[12:13]
	s_delay_alu instid0(SALU_CYCLE_1)
	s_mul_hi_u32 s17, s12, s15
	s_mul_i32 s16, s12, s15
	s_mul_hi_u32 s18, s12, s14
	s_mul_i32 s9, s13, s14
	s_add_nc_u64 s[16:17], s[18:19], s[16:17]
	s_mul_hi_u32 s2, s13, s14
	s_mul_hi_u32 s20, s13, s15
	s_add_co_u32 s9, s16, s9
	s_add_co_ci_u32 s18, s17, s2
	s_mul_i32 s14, s13, s15
	s_add_co_ci_u32 s15, s20, 0
	s_delay_alu instid0(SALU_CYCLE_1) | instskip(NEXT) | instid1(SALU_CYCLE_1)
	s_add_nc_u64 s[14:15], s[18:19], s[14:15]
	s_add_co_u32 s2, s12, s14
	s_cselect_b32 s9, -1, 0
	v_mul_hi_u32 v18, v10, s2
	s_cmp_lg_u32 s9, 0
	s_add_co_ci_u32 s18, s13, s15
	s_mov_b64 s[12:13], 0xffffffff
	v_mul_u64_e32 v[14:15], s[18:19], v[10:11]
	s_and_b64 s[12:13], s[2:3], s[12:13]
	v_mul_u64_e32 v[16:17], s[18:19], v[12:13]
	v_mul_u64_e32 v[8:9], s[12:13], v[12:13]
	s_delay_alu instid0(VALU_DEP_3) | instskip(NEXT) | instid1(VALU_DEP_1)
	v_add_nc_u64_e32 v[14:15], v[18:19], v[14:15]
	v_add_co_u32 v4, vcc_lo, v14, v8
	s_delay_alu instid0(VALU_DEP_2) | instskip(SKIP_1) | instid1(VALU_DEP_1)
	v_add_co_ci_u32_e32 v4, vcc_lo, v15, v9, vcc_lo
	v_add_co_ci_u32_e32 v17, vcc_lo, 0, v17, vcc_lo
	v_add_nc_u64_e32 v[4:5], v[4:5], v[16:17]
	s_delay_alu instid0(VALU_DEP_1) | instskip(NEXT) | instid1(VALU_DEP_1)
	v_mul_u64_e32 v[8:9], s[10:11], v[4:5]
	v_sub_nc_u32_e32 v7, v12, v9
	s_delay_alu instid0(VALU_DEP_2) | instskip(NEXT) | instid1(VALU_DEP_1)
	v_sub_co_u32 v8, vcc_lo, v10, v8
	v_sub_co_ci_u32_e64 v12, null, v12, v9, vcc_lo
	s_delay_alu instid0(VALU_DEP_3) | instskip(NEXT) | instid1(VALU_DEP_3)
	v_subrev_co_ci_u32_e64 v7, null, s11, v7, vcc_lo
	v_sub_co_u32 v10, s2, v8, s10
	s_delay_alu instid0(VALU_DEP_1) | instskip(NEXT) | instid1(VALU_DEP_2)
	v_subrev_co_ci_u32_e64 v7, null, 0, v7, s2
	v_cmp_le_u32_e32 vcc_lo, s10, v10
	v_cndmask_b32_e64 v9, 0, -1, vcc_lo
	s_delay_alu instid0(VALU_DEP_3)
	v_cmp_le_u32_e32 vcc_lo, s11, v7
	v_cndmask_b32_e64 v10, 0, -1, vcc_lo
	v_cmp_le_u32_e32 vcc_lo, s10, v8
	v_cndmask_b32_e64 v13, 0, -1, vcc_lo
	;; [unrolled: 2-line block ×3, first 2 shown]
	v_cmp_eq_u32_e32 vcc_lo, s11, v7
	v_cndmask_b32_e32 v7, v10, v9, vcc_lo
	v_cmp_eq_u32_e32 vcc_lo, s11, v12
	v_add_nc_u64_e32 v[8:9], 2, v[4:5]
	v_add_nc_u64_e32 v[10:11], 1, v[4:5]
	v_cndmask_b32_e32 v12, v14, v13, vcc_lo
	v_cmp_ne_u32_e32 vcc_lo, 0, v7
	s_delay_alu instid0(VALU_DEP_2) | instskip(NEXT) | instid1(VALU_DEP_4)
	v_cmp_ne_u32_e64 s2, 0, v12
	v_dual_cndmask_b32 v8, v10, v8 :: v_dual_cndmask_b32 v7, v11, v9
	s_delay_alu instid0(VALU_DEP_1) | instskip(NEXT) | instid1(VALU_DEP_1)
	v_dual_cndmask_b32 v4, v4, v8, s2 :: v_dual_cndmask_b32 v5, v5, v7, s2
	v_dual_mov_b32 v7, v6 :: v_dual_bitop2_b32 v4, v4, v6 bitop3:0x14
	s_delay_alu instid0(VALU_DEP_2) | instskip(NEXT) | instid1(VALU_DEP_1)
	v_xor_b32_e32 v5, v5, v6
	v_sub_nc_u64_e32 v[6:7], v[4:5], v[6:7]
.LBB1_5:
	s_or_saveexec_b32 s12, s3
	s_clause 0x1
	s_load_b128 s[8:11], s[0:1], 0x0
	s_load_b64 s[2:3], s[0:1], 0x10
	s_xor_b32 exec_lo, exec_lo, s12
	s_cbranch_execz .LBB1_7
; %bb.6:
	v_cvt_f32_u32_e32 v4, s6
	s_wait_xcnt 0x0
	s_sub_co_i32 s0, 0, s6
	s_delay_alu instid0(VALU_DEP_1) | instskip(SKIP_1) | instid1(TRANS32_DEP_1)
	v_rcp_iflag_f32_e32 v4, v4
	v_nop
	v_mul_f32_e32 v4, 0x4f7ffffe, v4
	s_delay_alu instid0(VALU_DEP_1) | instskip(NEXT) | instid1(VALU_DEP_1)
	v_cvt_u32_f32_e32 v4, v4
	v_mul_lo_u32 v5, s0, v4
	s_delay_alu instid0(VALU_DEP_1) | instskip(NEXT) | instid1(VALU_DEP_1)
	v_mul_hi_u32 v5, v4, v5
	v_add_nc_u32_e32 v4, v4, v5
	s_delay_alu instid0(VALU_DEP_1) | instskip(NEXT) | instid1(VALU_DEP_1)
	v_mul_hi_u32 v4, v0, v4
	v_mul_lo_u32 v5, v4, s6
	s_delay_alu instid0(VALU_DEP_1) | instskip(NEXT) | instid1(VALU_DEP_1)
	v_dual_add_nc_u32 v6, 1, v4 :: v_dual_sub_nc_u32 v5, v0, v5
	v_subrev_nc_u32_e32 v7, s6, v5
	v_cmp_le_u32_e32 vcc_lo, s6, v5
	s_delay_alu instid0(VALU_DEP_2) | instskip(NEXT) | instid1(VALU_DEP_4)
	v_dual_cndmask_b32 v5, v5, v7, vcc_lo :: v_dual_mov_b32 v7, 0
	v_cndmask_b32_e32 v4, v4, v6, vcc_lo
	s_delay_alu instid0(VALU_DEP_2) | instskip(NEXT) | instid1(VALU_DEP_2)
	v_cmp_le_u32_e32 vcc_lo, s6, v5
	v_add_nc_u32_e32 v6, 1, v4
	s_delay_alu instid0(VALU_DEP_1)
	v_cndmask_b32_e32 v6, v4, v6, vcc_lo
.LBB1_7:
	s_or_b32 exec_lo, exec_lo, s12
	v_mul_u64_e32 v[4:5], s[6:7], v[2:3]
	s_wait_kmcnt 0x0
	v_mul_u64_e32 v[2:3], s[4:5], v[2:3]
	s_mov_b32 s0, exec_lo
	s_delay_alu instid0(VALU_DEP_2) | instskip(NEXT) | instid1(VALU_DEP_1)
	v_lshl_add_u64 v[4:5], v[4:5], 3, s[10:11]
	v_lshl_add_u64 v[4:5], v[6:7], 3, v[4:5]
	global_load_b32 v10, v[4:5], off offset:4
	s_wait_xcnt 0x0
	v_lshl_add_u64 v[4:5], v[2:3], 2, s[2:3]
	v_lshl_add_u64 v[2:3], v[2:3], 3, s[8:9]
	s_wait_loadcnt 0x0
	v_cmpx_neq_f32_e32 0, v10
	s_xor_b32 s0, exec_lo, s0
	s_cbranch_execz .LBB1_13
; %bb.8:
	v_mul_u64_e32 v[8:9], s[6:7], v[6:7]
	s_mov_b32 s1, exec_lo
	s_delay_alu instid0(VALU_DEP_1)
	v_sub_nc_u64_e32 v[6:7], v[0:1], v[8:9]
	v_cmpx_nlt_f32_e32 0, v10
	s_xor_b32 s1, exec_lo, s1
	s_cbranch_execz .LBB1_10
; %bb.9:
	v_sub_nc_u64_e64 v[8:9], v[8:9], s[6:7]
	v_lshl_add_u64 v[10:11], v[0:1], 2, v[4:5]
	v_lshl_add_u64 v[0:1], v[0:1], 3, v[2:3]
                                        ; implicit-def: $vgpr2_vgpr3
	s_delay_alu instid0(VALU_DEP_3)
	v_lshl_add_u64 v[4:5], v[8:9], 2, v[4:5]
	global_load_b32 v8, v[10:11], off
	v_lshl_add_u64 v[4:5], v[6:7], 2, v[4:5]
                                        ; implicit-def: $vgpr6_vgpr7
	global_load_b32 v4, v[4:5], off
	s_wait_loadcnt 0x1
	s_wait_xcnt 0x0
	v_xor_b32_e32 v5, 0x80000000, v8
                                        ; implicit-def: $vgpr8_vgpr9
	s_wait_loadcnt 0x0
	global_store_b64 v[0:1], v[4:5], off
                                        ; implicit-def: $vgpr0_vgpr1
                                        ; implicit-def: $vgpr4_vgpr5
.LBB1_10:
	s_wait_xcnt 0x0
	s_and_not1_saveexec_b32 s1, s1
	s_cbranch_execz .LBB1_12
; %bb.11:
	v_add_nc_u64_e32 v[8:9], s[6:7], v[8:9]
	s_delay_alu instid0(VALU_DEP_1) | instskip(SKIP_2) | instid1(VALU_DEP_3)
	v_lshl_add_u64 v[8:9], v[8:9], 2, v[4:5]
	v_lshl_add_u64 v[4:5], v[0:1], 2, v[4:5]
	;; [unrolled: 1-line block ×4, first 2 shown]
	s_clause 0x1
	global_load_b32 v8, v[4:5], off
	global_load_b32 v9, v[6:7], off
	s_wait_loadcnt 0x0
	global_store_b64 v[0:1], v[8:9], off
.LBB1_12:
	s_wait_xcnt 0x0
	s_or_b32 exec_lo, exec_lo, s1
                                        ; implicit-def: $vgpr0_vgpr1
                                        ; implicit-def: $vgpr4_vgpr5
                                        ; implicit-def: $vgpr2_vgpr3
.LBB1_13:
	s_and_not1_saveexec_b32 s0, s0
	s_cbranch_execz .LBB1_15
; %bb.14:
	v_lshl_add_u64 v[4:5], v[0:1], 2, v[4:5]
	v_lshl_add_u64 v[0:1], v[0:1], 3, v[2:3]
	global_load_b32 v4, v[4:5], off
	s_wait_xcnt 0x0
	v_mov_b32_e32 v5, 0
	s_wait_loadcnt 0x0
	global_store_b64 v[0:1], v[4:5], off
.LBB1_15:
	s_endpgm
	.section	.rodata,"a",@progbits
	.p2align	6, 0x0
	.amdhsa_kernel _ZN2at6native12_GLOBAL__N_143linalg_eig_make_complex_eigenvectors_kernelIfEEvPN3c107complexIT_EEPKS6_PKS5_lll
		.amdhsa_group_segment_fixed_size 0
		.amdhsa_private_segment_fixed_size 0
		.amdhsa_kernarg_size 304
		.amdhsa_user_sgpr_count 2
		.amdhsa_user_sgpr_dispatch_ptr 0
		.amdhsa_user_sgpr_queue_ptr 0
		.amdhsa_user_sgpr_kernarg_segment_ptr 1
		.amdhsa_user_sgpr_dispatch_id 0
		.amdhsa_user_sgpr_kernarg_preload_length 0
		.amdhsa_user_sgpr_kernarg_preload_offset 0
		.amdhsa_user_sgpr_private_segment_size 0
		.amdhsa_wavefront_size32 1
		.amdhsa_uses_dynamic_stack 0
		.amdhsa_enable_private_segment 0
		.amdhsa_system_sgpr_workgroup_id_x 1
		.amdhsa_system_sgpr_workgroup_id_y 0
		.amdhsa_system_sgpr_workgroup_id_z 0
		.amdhsa_system_sgpr_workgroup_info 0
		.amdhsa_system_vgpr_workitem_id 0
		.amdhsa_next_free_vgpr 20
		.amdhsa_next_free_sgpr 23
		.amdhsa_named_barrier_count 0
		.amdhsa_reserve_vcc 1
		.amdhsa_float_round_mode_32 0
		.amdhsa_float_round_mode_16_64 0
		.amdhsa_float_denorm_mode_32 3
		.amdhsa_float_denorm_mode_16_64 3
		.amdhsa_fp16_overflow 0
		.amdhsa_memory_ordered 1
		.amdhsa_forward_progress 1
		.amdhsa_inst_pref_size 12
		.amdhsa_round_robin_scheduling 0
		.amdhsa_exception_fp_ieee_invalid_op 0
		.amdhsa_exception_fp_denorm_src 0
		.amdhsa_exception_fp_ieee_div_zero 0
		.amdhsa_exception_fp_ieee_overflow 0
		.amdhsa_exception_fp_ieee_underflow 0
		.amdhsa_exception_fp_ieee_inexact 0
		.amdhsa_exception_int_div_zero 0
	.end_amdhsa_kernel
	.section	.text._ZN2at6native12_GLOBAL__N_143linalg_eig_make_complex_eigenvectors_kernelIfEEvPN3c107complexIT_EEPKS6_PKS5_lll,"axG",@progbits,_ZN2at6native12_GLOBAL__N_143linalg_eig_make_complex_eigenvectors_kernelIfEEvPN3c107complexIT_EEPKS6_PKS5_lll,comdat
.Lfunc_end1:
	.size	_ZN2at6native12_GLOBAL__N_143linalg_eig_make_complex_eigenvectors_kernelIfEEvPN3c107complexIT_EEPKS6_PKS5_lll, .Lfunc_end1-_ZN2at6native12_GLOBAL__N_143linalg_eig_make_complex_eigenvectors_kernelIfEEvPN3c107complexIT_EEPKS6_PKS5_lll
                                        ; -- End function
	.set _ZN2at6native12_GLOBAL__N_143linalg_eig_make_complex_eigenvectors_kernelIfEEvPN3c107complexIT_EEPKS6_PKS5_lll.num_vgpr, 20
	.set _ZN2at6native12_GLOBAL__N_143linalg_eig_make_complex_eigenvectors_kernelIfEEvPN3c107complexIT_EEPKS6_PKS5_lll.num_agpr, 0
	.set _ZN2at6native12_GLOBAL__N_143linalg_eig_make_complex_eigenvectors_kernelIfEEvPN3c107complexIT_EEPKS6_PKS5_lll.numbered_sgpr, 23
	.set _ZN2at6native12_GLOBAL__N_143linalg_eig_make_complex_eigenvectors_kernelIfEEvPN3c107complexIT_EEPKS6_PKS5_lll.num_named_barrier, 0
	.set _ZN2at6native12_GLOBAL__N_143linalg_eig_make_complex_eigenvectors_kernelIfEEvPN3c107complexIT_EEPKS6_PKS5_lll.private_seg_size, 0
	.set _ZN2at6native12_GLOBAL__N_143linalg_eig_make_complex_eigenvectors_kernelIfEEvPN3c107complexIT_EEPKS6_PKS5_lll.uses_vcc, 1
	.set _ZN2at6native12_GLOBAL__N_143linalg_eig_make_complex_eigenvectors_kernelIfEEvPN3c107complexIT_EEPKS6_PKS5_lll.uses_flat_scratch, 0
	.set _ZN2at6native12_GLOBAL__N_143linalg_eig_make_complex_eigenvectors_kernelIfEEvPN3c107complexIT_EEPKS6_PKS5_lll.has_dyn_sized_stack, 0
	.set _ZN2at6native12_GLOBAL__N_143linalg_eig_make_complex_eigenvectors_kernelIfEEvPN3c107complexIT_EEPKS6_PKS5_lll.has_recursion, 0
	.set _ZN2at6native12_GLOBAL__N_143linalg_eig_make_complex_eigenvectors_kernelIfEEvPN3c107complexIT_EEPKS6_PKS5_lll.has_indirect_call, 0
	.section	.AMDGPU.csdata,"",@progbits
; Kernel info:
; codeLenInByte = 1460
; TotalNumSgprs: 25
; NumVgprs: 20
; ScratchSize: 0
; MemoryBound: 0
; FloatMode: 240
; IeeeMode: 1
; LDSByteSize: 0 bytes/workgroup (compile time only)
; SGPRBlocks: 0
; VGPRBlocks: 1
; NumSGPRsForWavesPerEU: 25
; NumVGPRsForWavesPerEU: 20
; NamedBarCnt: 0
; Occupancy: 16
; WaveLimiterHint : 0
; COMPUTE_PGM_RSRC2:SCRATCH_EN: 0
; COMPUTE_PGM_RSRC2:USER_SGPR: 2
; COMPUTE_PGM_RSRC2:TRAP_HANDLER: 0
; COMPUTE_PGM_RSRC2:TGID_X_EN: 1
; COMPUTE_PGM_RSRC2:TGID_Y_EN: 0
; COMPUTE_PGM_RSRC2:TGID_Z_EN: 0
; COMPUTE_PGM_RSRC2:TIDIG_COMP_CNT: 0
	.section	.AMDGPU.gpr_maximums,"",@progbits
	.set amdgpu.max_num_vgpr, 0
	.set amdgpu.max_num_agpr, 0
	.set amdgpu.max_num_sgpr, 0
	.section	.AMDGPU.csdata,"",@progbits
	.type	__hip_cuid_b43120684fd49726,@object ; @__hip_cuid_b43120684fd49726
	.section	.bss,"aw",@nobits
	.globl	__hip_cuid_b43120684fd49726
__hip_cuid_b43120684fd49726:
	.byte	0                               ; 0x0
	.size	__hip_cuid_b43120684fd49726, 1

	.ident	"AMD clang version 22.0.0git (https://github.com/RadeonOpenCompute/llvm-project roc-7.2.4 26084 f58b06dce1f9c15707c5f808fd002e18c2accf7e)"
	.section	".note.GNU-stack","",@progbits
	.addrsig
	.addrsig_sym __hip_cuid_b43120684fd49726
	.amdgpu_metadata
---
amdhsa.kernels:
  - .args:
      - .actual_access:  write_only
        .address_space:  global
        .offset:         0
        .size:           8
        .value_kind:     global_buffer
      - .actual_access:  read_only
        .address_space:  global
        .offset:         8
        .size:           8
        .value_kind:     global_buffer
      - .actual_access:  read_only
        .address_space:  global
        .offset:         16
        .size:           8
        .value_kind:     global_buffer
      - .offset:         24
        .size:           8
        .value_kind:     by_value
      - .offset:         32
        .size:           8
        .value_kind:     by_value
      - .offset:         40
        .size:           8
        .value_kind:     by_value
      - .offset:         48
        .size:           4
        .value_kind:     hidden_block_count_x
      - .offset:         52
        .size:           4
        .value_kind:     hidden_block_count_y
      - .offset:         56
        .size:           4
        .value_kind:     hidden_block_count_z
      - .offset:         60
        .size:           2
        .value_kind:     hidden_group_size_x
      - .offset:         62
        .size:           2
        .value_kind:     hidden_group_size_y
      - .offset:         64
        .size:           2
        .value_kind:     hidden_group_size_z
      - .offset:         66
        .size:           2
        .value_kind:     hidden_remainder_x
      - .offset:         68
        .size:           2
        .value_kind:     hidden_remainder_y
      - .offset:         70
        .size:           2
        .value_kind:     hidden_remainder_z
      - .offset:         88
        .size:           8
        .value_kind:     hidden_global_offset_x
      - .offset:         96
        .size:           8
        .value_kind:     hidden_global_offset_y
      - .offset:         104
        .size:           8
        .value_kind:     hidden_global_offset_z
      - .offset:         112
        .size:           2
        .value_kind:     hidden_grid_dims
    .group_segment_fixed_size: 0
    .kernarg_segment_align: 8
    .kernarg_segment_size: 304
    .language:       OpenCL C
    .language_version:
      - 2
      - 0
    .max_flat_workgroup_size: 1024
    .name:           _ZN2at6native12_GLOBAL__N_143linalg_eig_make_complex_eigenvectors_kernelIdEEvPN3c107complexIT_EEPKS6_PKS5_lll
    .private_segment_fixed_size: 0
    .sgpr_count:     25
    .sgpr_spill_count: 0
    .symbol:         _ZN2at6native12_GLOBAL__N_143linalg_eig_make_complex_eigenvectors_kernelIdEEvPN3c107complexIT_EEPKS6_PKS5_lll.kd
    .uniform_work_group_size: 1
    .uses_dynamic_stack: false
    .vgpr_count:     20
    .vgpr_spill_count: 0
    .wavefront_size: 32
  - .args:
      - .actual_access:  write_only
        .address_space:  global
        .offset:         0
        .size:           8
        .value_kind:     global_buffer
      - .actual_access:  read_only
        .address_space:  global
        .offset:         8
        .size:           8
        .value_kind:     global_buffer
      - .actual_access:  read_only
        .address_space:  global
        .offset:         16
        .size:           8
        .value_kind:     global_buffer
      - .offset:         24
        .size:           8
        .value_kind:     by_value
      - .offset:         32
        .size:           8
        .value_kind:     by_value
      - .offset:         40
        .size:           8
        .value_kind:     by_value
      - .offset:         48
        .size:           4
        .value_kind:     hidden_block_count_x
      - .offset:         52
        .size:           4
        .value_kind:     hidden_block_count_y
      - .offset:         56
        .size:           4
        .value_kind:     hidden_block_count_z
      - .offset:         60
        .size:           2
        .value_kind:     hidden_group_size_x
      - .offset:         62
        .size:           2
        .value_kind:     hidden_group_size_y
      - .offset:         64
        .size:           2
        .value_kind:     hidden_group_size_z
      - .offset:         66
        .size:           2
        .value_kind:     hidden_remainder_x
      - .offset:         68
        .size:           2
        .value_kind:     hidden_remainder_y
      - .offset:         70
        .size:           2
        .value_kind:     hidden_remainder_z
      - .offset:         88
        .size:           8
        .value_kind:     hidden_global_offset_x
      - .offset:         96
        .size:           8
        .value_kind:     hidden_global_offset_y
      - .offset:         104
        .size:           8
        .value_kind:     hidden_global_offset_z
      - .offset:         112
        .size:           2
        .value_kind:     hidden_grid_dims
    .group_segment_fixed_size: 0
    .kernarg_segment_align: 8
    .kernarg_segment_size: 304
    .language:       OpenCL C
    .language_version:
      - 2
      - 0
    .max_flat_workgroup_size: 1024
    .name:           _ZN2at6native12_GLOBAL__N_143linalg_eig_make_complex_eigenvectors_kernelIfEEvPN3c107complexIT_EEPKS6_PKS5_lll
    .private_segment_fixed_size: 0
    .sgpr_count:     25
    .sgpr_spill_count: 0
    .symbol:         _ZN2at6native12_GLOBAL__N_143linalg_eig_make_complex_eigenvectors_kernelIfEEvPN3c107complexIT_EEPKS6_PKS5_lll.kd
    .uniform_work_group_size: 1
    .uses_dynamic_stack: false
    .vgpr_count:     20
    .vgpr_spill_count: 0
    .wavefront_size: 32
amdhsa.target:   amdgcn-amd-amdhsa--gfx1250
amdhsa.version:
  - 1
  - 2
...

	.end_amdgpu_metadata
